;; amdgpu-corpus repo=ROCm/rocFFT kind=compiled arch=gfx1030 opt=O3
	.text
	.amdgcn_target "amdgcn-amd-amdhsa--gfx1030"
	.amdhsa_code_object_version 6
	.protected	fft_rtc_back_len1764_factors_2_2_3_3_7_7_wgs_126_tpt_126_halfLds_sp_op_CI_CI_unitstride_sbrr_dirReg ; -- Begin function fft_rtc_back_len1764_factors_2_2_3_3_7_7_wgs_126_tpt_126_halfLds_sp_op_CI_CI_unitstride_sbrr_dirReg
	.globl	fft_rtc_back_len1764_factors_2_2_3_3_7_7_wgs_126_tpt_126_halfLds_sp_op_CI_CI_unitstride_sbrr_dirReg
	.p2align	8
	.type	fft_rtc_back_len1764_factors_2_2_3_3_7_7_wgs_126_tpt_126_halfLds_sp_op_CI_CI_unitstride_sbrr_dirReg,@function
fft_rtc_back_len1764_factors_2_2_3_3_7_7_wgs_126_tpt_126_halfLds_sp_op_CI_CI_unitstride_sbrr_dirReg: ; @fft_rtc_back_len1764_factors_2_2_3_3_7_7_wgs_126_tpt_126_halfLds_sp_op_CI_CI_unitstride_sbrr_dirReg
; %bb.0:
	s_clause 0x2
	s_load_dwordx4 s[12:15], s[4:5], 0x0
	s_load_dwordx4 s[8:11], s[4:5], 0x58
	;; [unrolled: 1-line block ×3, first 2 shown]
	v_mul_u32_u24_e32 v1, 0x209, v0
	v_mov_b32_e32 v3, 0
	v_add_nc_u32_sdwa v5, s6, v1 dst_sel:DWORD dst_unused:UNUSED_PAD src0_sel:DWORD src1_sel:WORD_1
	v_mov_b32_e32 v1, 0
	v_mov_b32_e32 v6, v3
	v_mov_b32_e32 v2, 0
	s_waitcnt lgkmcnt(0)
	v_cmp_lt_u64_e64 s0, s[14:15], 2
	s_and_b32 vcc_lo, exec_lo, s0
	s_cbranch_vccnz .LBB0_8
; %bb.1:
	s_load_dwordx2 s[0:1], s[4:5], 0x10
	v_mov_b32_e32 v1, 0
	v_mov_b32_e32 v2, 0
	s_add_u32 s2, s18, 8
	s_addc_u32 s3, s19, 0
	s_add_u32 s6, s16, 8
	s_addc_u32 s7, s17, 0
	v_mov_b32_e32 v21, v2
	v_mov_b32_e32 v20, v1
	s_mov_b64 s[22:23], 1
	s_waitcnt lgkmcnt(0)
	s_add_u32 s20, s0, 8
	s_addc_u32 s21, s1, 0
.LBB0_2:                                ; =>This Inner Loop Header: Depth=1
	s_load_dwordx2 s[24:25], s[20:21], 0x0
                                        ; implicit-def: $vgpr22_vgpr23
	s_mov_b32 s0, exec_lo
	s_waitcnt lgkmcnt(0)
	v_or_b32_e32 v4, s25, v6
	v_cmpx_ne_u64_e32 0, v[3:4]
	s_xor_b32 s1, exec_lo, s0
	s_cbranch_execz .LBB0_4
; %bb.3:                                ;   in Loop: Header=BB0_2 Depth=1
	v_cvt_f32_u32_e32 v4, s24
	v_cvt_f32_u32_e32 v7, s25
	s_sub_u32 s0, 0, s24
	s_subb_u32 s26, 0, s25
	v_fmac_f32_e32 v4, 0x4f800000, v7
	v_rcp_f32_e32 v4, v4
	v_mul_f32_e32 v4, 0x5f7ffffc, v4
	v_mul_f32_e32 v7, 0x2f800000, v4
	v_trunc_f32_e32 v7, v7
	v_fmac_f32_e32 v4, 0xcf800000, v7
	v_cvt_u32_f32_e32 v7, v7
	v_cvt_u32_f32_e32 v4, v4
	v_mul_lo_u32 v8, s0, v7
	v_mul_hi_u32 v9, s0, v4
	v_mul_lo_u32 v10, s26, v4
	v_add_nc_u32_e32 v8, v9, v8
	v_mul_lo_u32 v9, s0, v4
	v_add_nc_u32_e32 v8, v8, v10
	v_mul_hi_u32 v10, v4, v9
	v_mul_lo_u32 v11, v4, v8
	v_mul_hi_u32 v12, v4, v8
	v_mul_hi_u32 v13, v7, v9
	v_mul_lo_u32 v9, v7, v9
	v_mul_hi_u32 v14, v7, v8
	v_mul_lo_u32 v8, v7, v8
	v_add_co_u32 v10, vcc_lo, v10, v11
	v_add_co_ci_u32_e32 v11, vcc_lo, 0, v12, vcc_lo
	v_add_co_u32 v9, vcc_lo, v10, v9
	v_add_co_ci_u32_e32 v9, vcc_lo, v11, v13, vcc_lo
	v_add_co_ci_u32_e32 v10, vcc_lo, 0, v14, vcc_lo
	v_add_co_u32 v8, vcc_lo, v9, v8
	v_add_co_ci_u32_e32 v9, vcc_lo, 0, v10, vcc_lo
	v_add_co_u32 v4, vcc_lo, v4, v8
	v_add_co_ci_u32_e32 v7, vcc_lo, v7, v9, vcc_lo
	v_mul_hi_u32 v8, s0, v4
	v_mul_lo_u32 v10, s26, v4
	v_mul_lo_u32 v9, s0, v7
	v_add_nc_u32_e32 v8, v8, v9
	v_mul_lo_u32 v9, s0, v4
	v_add_nc_u32_e32 v8, v8, v10
	v_mul_hi_u32 v10, v4, v9
	v_mul_lo_u32 v11, v4, v8
	v_mul_hi_u32 v12, v4, v8
	v_mul_hi_u32 v13, v7, v9
	v_mul_lo_u32 v9, v7, v9
	v_mul_hi_u32 v14, v7, v8
	v_mul_lo_u32 v8, v7, v8
	v_add_co_u32 v10, vcc_lo, v10, v11
	v_add_co_ci_u32_e32 v11, vcc_lo, 0, v12, vcc_lo
	v_add_co_u32 v9, vcc_lo, v10, v9
	v_add_co_ci_u32_e32 v9, vcc_lo, v11, v13, vcc_lo
	v_add_co_ci_u32_e32 v10, vcc_lo, 0, v14, vcc_lo
	v_add_co_u32 v8, vcc_lo, v9, v8
	v_add_co_ci_u32_e32 v9, vcc_lo, 0, v10, vcc_lo
	v_add_co_u32 v4, vcc_lo, v4, v8
	v_add_co_ci_u32_e32 v11, vcc_lo, v7, v9, vcc_lo
	v_mul_hi_u32 v13, v5, v4
	v_mad_u64_u32 v[9:10], null, v6, v4, 0
	v_mad_u64_u32 v[7:8], null, v5, v11, 0
	;; [unrolled: 1-line block ×3, first 2 shown]
	v_add_co_u32 v4, vcc_lo, v13, v7
	v_add_co_ci_u32_e32 v7, vcc_lo, 0, v8, vcc_lo
	v_add_co_u32 v4, vcc_lo, v4, v9
	v_add_co_ci_u32_e32 v4, vcc_lo, v7, v10, vcc_lo
	v_add_co_ci_u32_e32 v7, vcc_lo, 0, v12, vcc_lo
	v_add_co_u32 v4, vcc_lo, v4, v11
	v_add_co_ci_u32_e32 v9, vcc_lo, 0, v7, vcc_lo
	v_mul_lo_u32 v10, s25, v4
	v_mad_u64_u32 v[7:8], null, s24, v4, 0
	v_mul_lo_u32 v11, s24, v9
	v_sub_co_u32 v7, vcc_lo, v5, v7
	v_add3_u32 v8, v8, v11, v10
	v_sub_nc_u32_e32 v10, v6, v8
	v_subrev_co_ci_u32_e64 v10, s0, s25, v10, vcc_lo
	v_add_co_u32 v11, s0, v4, 2
	v_add_co_ci_u32_e64 v12, s0, 0, v9, s0
	v_sub_co_u32 v13, s0, v7, s24
	v_sub_co_ci_u32_e32 v8, vcc_lo, v6, v8, vcc_lo
	v_subrev_co_ci_u32_e64 v10, s0, 0, v10, s0
	v_cmp_le_u32_e32 vcc_lo, s24, v13
	v_cmp_eq_u32_e64 s0, s25, v8
	v_cndmask_b32_e64 v13, 0, -1, vcc_lo
	v_cmp_le_u32_e32 vcc_lo, s25, v10
	v_cndmask_b32_e64 v14, 0, -1, vcc_lo
	v_cmp_le_u32_e32 vcc_lo, s24, v7
	;; [unrolled: 2-line block ×3, first 2 shown]
	v_cndmask_b32_e64 v15, 0, -1, vcc_lo
	v_cmp_eq_u32_e32 vcc_lo, s25, v10
	v_cndmask_b32_e64 v7, v15, v7, s0
	v_cndmask_b32_e32 v10, v14, v13, vcc_lo
	v_add_co_u32 v13, vcc_lo, v4, 1
	v_add_co_ci_u32_e32 v14, vcc_lo, 0, v9, vcc_lo
	v_cmp_ne_u32_e32 vcc_lo, 0, v10
	v_cndmask_b32_e32 v8, v14, v12, vcc_lo
	v_cndmask_b32_e32 v10, v13, v11, vcc_lo
	v_cmp_ne_u32_e32 vcc_lo, 0, v7
	v_cndmask_b32_e32 v23, v9, v8, vcc_lo
	v_cndmask_b32_e32 v22, v4, v10, vcc_lo
.LBB0_4:                                ;   in Loop: Header=BB0_2 Depth=1
	s_andn2_saveexec_b32 s0, s1
	s_cbranch_execz .LBB0_6
; %bb.5:                                ;   in Loop: Header=BB0_2 Depth=1
	v_cvt_f32_u32_e32 v4, s24
	s_sub_i32 s1, 0, s24
	v_mov_b32_e32 v23, v3
	v_rcp_iflag_f32_e32 v4, v4
	v_mul_f32_e32 v4, 0x4f7ffffe, v4
	v_cvt_u32_f32_e32 v4, v4
	v_mul_lo_u32 v7, s1, v4
	v_mul_hi_u32 v7, v4, v7
	v_add_nc_u32_e32 v4, v4, v7
	v_mul_hi_u32 v4, v5, v4
	v_mul_lo_u32 v7, v4, s24
	v_add_nc_u32_e32 v8, 1, v4
	v_sub_nc_u32_e32 v7, v5, v7
	v_subrev_nc_u32_e32 v9, s24, v7
	v_cmp_le_u32_e32 vcc_lo, s24, v7
	v_cndmask_b32_e32 v7, v7, v9, vcc_lo
	v_cndmask_b32_e32 v4, v4, v8, vcc_lo
	v_cmp_le_u32_e32 vcc_lo, s24, v7
	v_add_nc_u32_e32 v8, 1, v4
	v_cndmask_b32_e32 v22, v4, v8, vcc_lo
.LBB0_6:                                ;   in Loop: Header=BB0_2 Depth=1
	s_or_b32 exec_lo, exec_lo, s0
	v_mul_lo_u32 v4, v23, s24
	v_mul_lo_u32 v9, v22, s25
	s_load_dwordx2 s[0:1], s[6:7], 0x0
	v_mad_u64_u32 v[7:8], null, v22, s24, 0
	s_load_dwordx2 s[24:25], s[2:3], 0x0
	s_add_u32 s22, s22, 1
	s_addc_u32 s23, s23, 0
	s_add_u32 s2, s2, 8
	s_addc_u32 s3, s3, 0
	s_add_u32 s6, s6, 8
	v_add3_u32 v4, v8, v9, v4
	v_sub_co_u32 v5, vcc_lo, v5, v7
	s_addc_u32 s7, s7, 0
	s_add_u32 s20, s20, 8
	v_sub_co_ci_u32_e32 v4, vcc_lo, v6, v4, vcc_lo
	s_addc_u32 s21, s21, 0
	s_waitcnt lgkmcnt(0)
	v_mul_lo_u32 v6, s0, v4
	v_mul_lo_u32 v7, s1, v5
	v_mad_u64_u32 v[1:2], null, s0, v5, v[1:2]
	v_mul_lo_u32 v4, s24, v4
	v_mul_lo_u32 v8, s25, v5
	v_mad_u64_u32 v[20:21], null, s24, v5, v[20:21]
	v_cmp_ge_u64_e64 s0, s[22:23], s[14:15]
	v_add3_u32 v2, v7, v2, v6
	v_add3_u32 v21, v8, v21, v4
	s_and_b32 vcc_lo, exec_lo, s0
	s_cbranch_vccnz .LBB0_9
; %bb.7:                                ;   in Loop: Header=BB0_2 Depth=1
	v_mov_b32_e32 v5, v22
	v_mov_b32_e32 v6, v23
	s_branch .LBB0_2
.LBB0_8:
	v_mov_b32_e32 v21, v2
	v_mov_b32_e32 v23, v6
	;; [unrolled: 1-line block ×4, first 2 shown]
.LBB0_9:
	s_load_dwordx2 s[0:1], s[4:5], 0x28
	v_mul_hi_u32 v9, 0x2082083, v0
	s_lshl_b64 s[4:5], s[14:15], 3
                                        ; implicit-def: $sgpr6_sgpr7
                                        ; implicit-def: $vgpr40
	s_add_u32 s2, s18, s4
	s_addc_u32 s3, s19, s5
	s_waitcnt lgkmcnt(0)
	v_cmp_gt_u64_e32 vcc_lo, s[0:1], v[22:23]
	v_cmp_le_u64_e64 s0, s[0:1], v[22:23]
	s_and_saveexec_b32 s1, s0
	s_xor_b32 s0, exec_lo, s1
; %bb.10:
	v_mul_u32_u24_e32 v1, 0x7e, v9
	s_mov_b64 s[6:7], 0
                                        ; implicit-def: $vgpr9
	v_sub_nc_u32_e32 v40, v0, v1
                                        ; implicit-def: $vgpr0
                                        ; implicit-def: $vgpr1_vgpr2
; %bb.11:
	s_or_saveexec_b32 s1, s0
	v_mov_b32_e32 v3, s6
	v_mov_b32_e32 v5, s6
	;; [unrolled: 1-line block ×14, first 2 shown]
                                        ; implicit-def: $vgpr33
                                        ; implicit-def: $vgpr29
                                        ; implicit-def: $vgpr27
                                        ; implicit-def: $vgpr25
                                        ; implicit-def: $vgpr10
                                        ; implicit-def: $vgpr31
                                        ; implicit-def: $vgpr35
	s_xor_b32 exec_lo, exec_lo, s1
	s_cbranch_execz .LBB0_13
; %bb.12:
	s_add_u32 s4, s16, s4
	s_addc_u32 s5, s17, s5
	v_lshlrev_b64 v[1:2], 3, v[1:2]
	s_load_dwordx2 s[4:5], s[4:5], 0x0
	s_waitcnt lgkmcnt(0)
	v_mul_lo_u32 v5, s5, v22
	v_mul_lo_u32 v6, s4, v23
	v_mad_u64_u32 v[3:4], null, s4, v22, 0
	v_add3_u32 v4, v4, v6, v5
	v_mul_u32_u24_e32 v5, 0x7e, v9
	v_lshlrev_b64 v[3:4], 3, v[3:4]
	v_sub_nc_u32_e32 v40, v0, v5
	v_add_co_u32 v0, s0, s8, v3
	v_add_co_ci_u32_e64 v3, s0, s9, v4, s0
	v_lshlrev_b32_e32 v4, 3, v40
	v_add_co_u32 v0, s0, v0, v1
	v_add_co_ci_u32_e64 v1, s0, v3, v2, s0
	v_add_co_u32 v0, s0, v0, v4
	v_add_co_ci_u32_e64 v1, s0, 0, v1, s0
	s_clause 0x1
	global_load_dwordx2 v[3:4], v[0:1], off
	global_load_dwordx2 v[5:6], v[0:1], off offset:1008
	v_add_co_u32 v7, s0, 0x1800, v0
	v_add_co_ci_u32_e64 v8, s0, 0, v1, s0
	v_add_co_u32 v9, s0, 0x2000, v0
	v_add_co_ci_u32_e64 v10, s0, 0, v1, s0
	;; [unrolled: 2-line block ×6, first 2 shown]
	s_clause 0xb
	global_load_dwordx2 v[32:33], v[7:8], off offset:912
	global_load_dwordx2 v[17:18], v[0:1], off offset:2016
	;; [unrolled: 1-line block ×12, first 2 shown]
.LBB0_13:
	s_or_b32 exec_lo, exec_lo, s1
	s_waitcnt vmcnt(8)
	v_sub_f32_e32 v31, v18, v31
	v_sub_f32_e32 v1, v3, v32
	;; [unrolled: 1-line block ×4, first 2 shown]
	s_waitcnt vmcnt(2)
	v_sub_f32_e32 v47, v15, v24
	v_fma_f32 v30, v18, 2.0, -v31
	v_sub_f32_e32 v18, v13, v26
	v_sub_f32_e32 v26, v14, v27
	v_add_nc_u32_e32 v42, 0x7e, v40
	v_add_nc_u32_e32 v43, 0xfc, v40
	v_fma_f32 v0, v3, 2.0, -v1
	v_sub_f32_e32 v53, v16, v25
	v_fma_f32 v25, v14, 2.0, -v26
	v_lshl_add_u32 v14, v40, 3, 0
	v_sub_f32_e32 v3, v6, v35
	v_fma_f32 v35, v5, 2.0, -v36
	v_fma_f32 v46, v15, 2.0, -v47
	v_lshl_add_u32 v15, v42, 3, 0
	v_fma_f32 v37, v17, 2.0, -v38
	v_lshl_add_u32 v24, v43, 3, 0
	v_sub_f32_e32 v33, v4, v33
	v_sub_f32_e32 v5, v11, v28
	s_load_dwordx2 s[2:3], s[2:3], 0x0
	ds_write_b64 v14, v[0:1]
	ds_write_b64 v15, v[35:36]
	;; [unrolled: 1-line block ×3, first 2 shown]
	v_add_nc_u32_e32 v45, 0x17a, v40
	v_lshlrev_b32_e32 v0, 2, v40
	v_add_nc_u32_e32 v44, 0x1f8, v40
	v_sub_f32_e32 v28, v12, v29
	v_add_nc_u32_e32 v29, 0x276, v40
	v_fma_f32 v32, v4, 2.0, -v33
	v_fma_f32 v4, v11, 2.0, -v5
	s_waitcnt vmcnt(0)
	v_sub_f32_e32 v11, v7, v9
	v_add_nc_u32_e32 v34, 0x2f4, v40
	v_lshl_add_u32 v35, v45, 3, 0
	v_sub_nc_u32_e32 v41, v14, v0
	v_fma_f32 v17, v13, 2.0, -v18
	v_lshl_add_u32 v36, v44, 3, 0
	v_lshl_add_u32 v37, v29, 3, 0
	v_sub_f32_e32 v9, v8, v10
	v_fma_f32 v10, v7, 2.0, -v11
	v_lshl_add_u32 v38, v34, 3, 0
	ds_write_b64 v35, v[4:5]
	ds_write_b64 v36, v[17:18]
	;; [unrolled: 1-line block ×4, first 2 shown]
	v_add_nc_u32_e32 v46, 0xe00, v41
	v_fma_f32 v2, v6, 2.0, -v3
	v_add_nc_u32_e32 v39, 0xa00, v41
	v_add_nc_u32_e32 v49, 0x200, v41
	;; [unrolled: 1-line block ×5, first 2 shown]
	v_fma_f32 v27, v12, 2.0, -v28
	v_fma_f32 v52, v16, 2.0, -v53
	s_waitcnt lgkmcnt(0)
	s_barrier
	buffer_gl0_inv
	ds_read2_b32 v[0:1], v41 offset1:126
	ds_read2_b32 v[6:7], v39 offset0:116 offset1:242
	ds_read2_b32 v[18:19], v46 offset0:112 offset1:238
	;; [unrolled: 1-line block ×6, first 2 shown]
	s_waitcnt lgkmcnt(0)
	s_barrier
	buffer_gl0_inv
	ds_write_b64 v14, v[32:33]
	ds_write_b64 v15, v[2:3]
	v_and_b32_e32 v2, 1, v40
	v_fma_f32 v8, v8, 2.0, -v9
	ds_write_b64 v24, v[30:31]
	ds_write_b64 v35, v[27:28]
	;; [unrolled: 1-line block ×4, first 2 shown]
	v_lshlrev_b32_e32 v14, 1, v45
	v_lshlrev_b32_e32 v15, 1, v44
	;; [unrolled: 1-line block ×3, first 2 shown]
	ds_write_b64 v38, v[8:9]
	s_waitcnt lgkmcnt(0)
	s_barrier
	buffer_gl0_inv
	global_load_dwordx2 v[24:25], v3, s[12:13]
	v_lshlrev_b32_e32 v3, 1, v40
	v_lshlrev_b32_e32 v8, 1, v42
	;; [unrolled: 1-line block ×4, first 2 shown]
	ds_read2_b32 v[26:27], v39 offset0:116 offset1:242
	ds_read2_b32 v[36:37], v46 offset0:112 offset1:238
	v_and_or_b32 v3, 0xfc, v3, v2
	v_lshlrev_b32_e32 v30, 1, v34
	ds_read2_b32 v[34:35], v51 offset0:104 offset1:230
	v_add_nc_u32_e32 v53, 0x800, v41
	v_add_nc_u32_e32 v54, 0xc00, v41
	v_lshl_add_u32 v52, v3, 2, 0
	v_and_or_b32 v3, 0x1fc, v8, v2
	v_and_or_b32 v8, 0x3fc, v9, v2
	;; [unrolled: 1-line block ×5, first 2 shown]
	ds_read2_b32 v[28:29], v50 offset0:108 offset1:234
	v_and_or_b32 v2, 0x7fc, v30, v2
	v_lshl_add_u32 v55, v3, 2, 0
	v_lshl_add_u32 v56, v8, 2, 0
	;; [unrolled: 1-line block ×6, first 2 shown]
	ds_read2_b32 v[38:39], v41 offset1:126
	ds_read2_b32 v[32:33], v49 offset0:124 offset1:250
	ds_read2_b32 v[30:31], v47 offset0:120 offset1:246
	s_waitcnt vmcnt(0) lgkmcnt(0)
	s_barrier
	buffer_gl0_inv
	v_cmp_gt_u32_e64 s0, 0x54, v40
                                        ; implicit-def: $vgpr48
	v_mul_f32_e32 v2, v27, v25
	v_mul_f32_e32 v3, v36, v25
	;; [unrolled: 1-line block ×7, first 2 shown]
	v_fmac_f32_e32 v2, v7, v24
	v_fmac_f32_e32 v3, v18, v24
	;; [unrolled: 1-line block ×7, first 2 shown]
	v_sub_f32_e32 v2, v0, v2
	v_sub_f32_e32 v3, v1, v3
	;; [unrolled: 1-line block ×7, first 2 shown]
	v_fma_f32 v0, v0, 2.0, -v2
	v_fma_f32 v1, v1, 2.0, -v3
	;; [unrolled: 1-line block ×7, first 2 shown]
	ds_write2_b32 v52, v0, v2 offset1:2
	ds_write2_b32 v55, v1, v3 offset1:2
	;; [unrolled: 1-line block ×7, first 2 shown]
	s_waitcnt lgkmcnt(0)
	s_barrier
	buffer_gl0_inv
	ds_read2_b32 v[2:3], v41 offset1:126
	ds_read2_b32 v[14:15], v53 offset0:76 offset1:202
	ds_read2_b32 v[12:13], v50 offset0:24 offset1:150
	;; [unrolled: 1-line block ×5, first 2 shown]
	s_and_saveexec_b32 s1, s0
	s_cbranch_execz .LBB0_15
; %bb.14:
	ds_read_b32 v46, v41 offset:2016
	ds_read_b32 v47, v41 offset:4368
	;; [unrolled: 1-line block ×3, first 2 shown]
.LBB0_15:
	s_or_b32 exec_lo, exec_lo, s1
	v_mul_f32_e32 v6, v7, v25
	v_mul_f32_e32 v7, v18, v25
	;; [unrolled: 1-line block ×5, first 2 shown]
	v_fma_f32 v6, v27, v24, -v6
	v_mul_f32_e32 v4, v4, v25
	v_mul_f32_e32 v5, v5, v25
	v_fma_f32 v7, v36, v24, -v7
	v_fma_f32 v18, v37, v24, -v18
	;; [unrolled: 1-line block ×4, first 2 shown]
	v_sub_f32_e32 v6, v38, v6
	v_fma_f32 v4, v34, v24, -v4
	v_fma_f32 v5, v35, v24, -v5
	v_sub_f32_e32 v7, v39, v7
	v_sub_f32_e32 v18, v32, v18
	;; [unrolled: 1-line block ×4, first 2 shown]
	v_fma_f32 v19, v38, 2.0, -v6
	v_sub_f32_e32 v4, v31, v4
	v_sub_f32_e32 v29, v26, v5
	v_fma_f32 v24, v39, 2.0, -v7
	v_fma_f32 v5, v32, 2.0, -v18
	;; [unrolled: 1-line block ×6, first 2 shown]
	s_waitcnt lgkmcnt(0)
	s_barrier
	buffer_gl0_inv
	ds_write2_b32 v52, v19, v6 offset1:2
	ds_write2_b32 v55, v24, v7 offset1:2
	;; [unrolled: 1-line block ×7, first 2 shown]
	s_waitcnt lgkmcnt(0)
	s_barrier
	buffer_gl0_inv
	ds_read2_b32 v[6:7], v41 offset1:126
	ds_read2_b32 v[26:27], v53 offset0:76 offset1:202
	ds_read2_b32 v[24:25], v50 offset0:24 offset1:150
	;; [unrolled: 1-line block ×5, first 2 shown]
                                        ; implicit-def: $vgpr31
	s_and_saveexec_b32 s1, s0
	s_cbranch_execz .LBB0_17
; %bb.16:
	ds_read_b32 v30, v41 offset:2016
	ds_read_b32 v29, v41 offset:4368
	ds_read_b32 v31, v41 offset:6720
.LBB0_17:
	s_or_b32 exec_lo, exec_lo, s1
	v_and_b32_e32 v28, 3, v40
	v_and_b32_e32 v32, 3, v45
	;; [unrolled: 1-line block ×3, first 2 shown]
	v_lshrrev_b32_e32 v38, 2, v45
	v_lshrrev_b32_e32 v36, 2, v42
	v_lshlrev_b32_e32 v33, 4, v28
	v_lshlrev_b32_e32 v34, 4, v32
	v_lshrrev_b32_e32 v37, 2, v43
	v_mul_u32_u24_e32 v38, 12, v38
	v_mul_u32_u24_e32 v36, 12, v36
	s_clause 0x1
	global_load_dwordx4 v[60:63], v33, s[12:13] offset:16
	global_load_dwordx2 v[56:57], v34, s[12:13] offset:16
	v_lshlrev_b32_e32 v33, 4, v35
	s_clause 0x3
	global_load_dwordx2 v[64:65], v34, s[12:13] offset:24
	global_load_dword v52, v34, s[12:13] offset:28
	global_load_dwordx2 v[66:67], v34, s[12:13] offset:20
	global_load_dword v55, v33, s[12:13] offset:16
	v_lshrrev_b32_e32 v34, 2, v40
	v_mul_u32_u24_e32 v37, 12, v37
	v_or_b32_e32 v32, v38, v32
	v_or_b32_e32 v35, v36, v35
	v_lshrrev_b32_e32 v33, 2, v44
	v_mul_u32_u24_e32 v34, 12, v34
	v_or_b32_e32 v39, v37, v28
	s_waitcnt vmcnt(0) lgkmcnt(0)
	v_lshl_add_u32 v36, v35, 2, 0
	s_barrier
	v_or_b32_e32 v34, v34, v28
	v_lshl_add_u32 v35, v39, 2, 0
	buffer_gl0_inv
	v_lshl_add_u32 v37, v34, 2, 0
	v_lshl_add_u32 v34, v32, 2, 0
	v_mul_f32_e32 v51, v26, v61
	v_mul_f32_e32 v38, v27, v57
	;; [unrolled: 1-line block ×6, first 2 shown]
	v_fmac_f32_e32 v51, v14, v60
	v_fmac_f32_e32 v38, v15, v55
	v_mul_f32_e32 v14, v11, v66
	v_fma_f32 v55, v27, v55, -v57
	v_mul_f32_e32 v27, v17, v52
	v_mul_f32_e32 v66, v9, v52
	v_fma_f32 v59, v26, v60, -v32
	v_mul_f32_e32 v26, v29, v61
	v_mul_f32_e32 v52, v31, v63
	;; [unrolled: 1-line block ×8, first 2 shown]
	v_fmac_f32_e32 v54, v12, v62
	v_mul_f32_e32 v12, v48, v63
	v_fmac_f32_e32 v39, v11, v56
	v_fmac_f32_e32 v27, v9, v64
	;; [unrolled: 1-line block ×4, first 2 shown]
	v_mul_f32_e32 v65, v13, v65
	v_fmac_f32_e32 v49, v13, v67
	v_mul_f32_e32 v15, v8, v63
	v_fmac_f32_e32 v50, v10, v60
	v_fmac_f32_e32 v53, v8, v62
	v_fma_f32 v58, v24, v62, -v58
	v_fma_f32 v24, v19, v56, -v14
	;; [unrolled: 1-line block ×6, first 2 shown]
	v_add_f32_e32 v10, v51, v54
	v_add_f32_e32 v31, v39, v27
	v_add_f32_e32 v48, v26, v52
	v_fma_f32 v25, v25, v67, -v65
	v_add_f32_e32 v13, v38, v49
	v_fma_f32 v56, v16, v62, -v15
	v_add_f32_e32 v16, v50, v53
	v_add_f32_e32 v9, v2, v51
	v_sub_f32_e32 v11, v59, v58
	v_add_f32_e32 v12, v3, v38
	v_add_f32_e32 v15, v0, v50
	v_add_f32_e32 v19, v1, v39
	v_sub_f32_e32 v32, v24, v8
	v_add_f32_e32 v47, v46, v26
	v_sub_f32_e32 v60, v18, v17
	v_fma_f32 v2, -0.5, v10, v2
	v_fmac_f32_e32 v1, -0.5, v31
	v_fmac_f32_e32 v46, -0.5, v48
	v_sub_f32_e32 v14, v55, v25
	v_fmac_f32_e32 v3, -0.5, v13
	v_sub_f32_e32 v29, v57, v56
	v_fma_f32 v0, -0.5, v16, v0
	v_add_f32_e32 v9, v9, v54
	v_add_f32_e32 v10, v12, v49
	;; [unrolled: 1-line block ×5, first 2 shown]
	v_fmamk_f32 v15, v11, 0xbf5db3d7, v2
	v_fmamk_f32 v16, v32, 0xbf5db3d7, v1
	v_fmac_f32_e32 v1, 0x3f5db3d7, v32
	v_fmamk_f32 v32, v60, 0xbf5db3d7, v46
	v_fmac_f32_e32 v46, 0x3f5db3d7, v60
	v_fmac_f32_e32 v2, 0x3f5db3d7, v11
	v_fmamk_f32 v11, v14, 0xbf5db3d7, v3
	v_fmac_f32_e32 v3, 0x3f5db3d7, v14
	v_fmamk_f32 v14, v29, 0xbf5db3d7, v0
	v_fmac_f32_e32 v0, 0x3f5db3d7, v29
	ds_write2_b32 v37, v9, v15 offset1:4
	ds_write_b32 v37, v2 offset:32
	ds_write2_b32 v36, v10, v11 offset1:4
	ds_write_b32 v36, v3 offset:32
	;; [unrolled: 2-line block ×4, first 2 shown]
	s_and_saveexec_b32 s1, s0
	s_cbranch_execz .LBB0_19
; %bb.18:
	v_mul_u32_u24_e32 v0, 12, v33
	v_or_b32_e32 v0, v0, v28
	v_lshl_add_u32 v0, v0, 2, 0
	ds_write2_b32 v0, v19, v32 offset1:4
	ds_write_b32 v0, v46 offset:32
.LBB0_19:
	s_or_b32 exec_lo, exec_lo, s1
	v_add_nc_u32_e32 v2, 0x800, v41
	v_add_nc_u32_e32 v3, 0x1200, v41
	;; [unrolled: 1-line block ×5, first 2 shown]
	s_waitcnt lgkmcnt(0)
	s_barrier
	buffer_gl0_inv
	ds_read2_b32 v[0:1], v41 offset1:126
	ds_read2_b32 v[15:16], v2 offset0:76 offset1:202
	ds_read2_b32 v[13:14], v3 offset0:24 offset1:150
	;; [unrolled: 1-line block ×5, first 2 shown]
	s_and_saveexec_b32 s1, s0
	s_cbranch_execz .LBB0_21
; %bb.20:
	ds_read_b32 v19, v41 offset:2016
	ds_read_b32 v32, v41 offset:4368
	;; [unrolled: 1-line block ×3, first 2 shown]
.LBB0_21:
	s_or_b32 exec_lo, exec_lo, s1
	v_add_f32_e32 v29, v59, v58
	v_add_f32_e32 v31, v6, v59
	v_sub_f32_e32 v47, v51, v54
	v_add_f32_e32 v51, v57, v56
	v_add_f32_e32 v48, v55, v25
	v_fma_f32 v6, -0.5, v29, v6
	v_add_f32_e32 v29, v7, v55
	v_add_f32_e32 v54, v31, v58
	v_sub_f32_e32 v31, v38, v49
	v_fma_f32 v38, -0.5, v51, v4
	v_fmac_f32_e32 v7, -0.5, v48
	v_add_f32_e32 v25, v29, v25
	v_add_f32_e32 v29, v4, v57
	v_sub_f32_e32 v4, v50, v53
	v_fmamk_f32 v48, v47, 0x3f5db3d7, v6
	v_fmac_f32_e32 v6, 0xbf5db3d7, v47
	v_fmamk_f32 v47, v31, 0x3f5db3d7, v7
	v_fmac_f32_e32 v7, 0xbf5db3d7, v31
	;; [unrolled: 2-line block ×3, first 2 shown]
	v_add_f32_e32 v4, v18, v17
	v_add_f32_e32 v31, v24, v8
	v_add_f32_e32 v18, v30, v18
	v_sub_f32_e32 v26, v26, v52
	v_add_f32_e32 v24, v5, v24
	v_fmac_f32_e32 v30, -0.5, v4
	v_fmac_f32_e32 v5, -0.5, v31
	v_sub_f32_e32 v27, v39, v27
	v_add_f32_e32 v31, v18, v17
	v_add_f32_e32 v29, v29, v56
	v_fmamk_f32 v4, v26, 0x3f5db3d7, v30
	v_fmac_f32_e32 v30, 0xbf5db3d7, v26
	v_add_f32_e32 v8, v24, v8
	v_fmamk_f32 v24, v27, 0x3f5db3d7, v5
	v_fmac_f32_e32 v5, 0xbf5db3d7, v27
	s_waitcnt lgkmcnt(0)
	s_barrier
	buffer_gl0_inv
	ds_write2_b32 v37, v54, v48 offset1:4
	ds_write_b32 v37, v6 offset:32
	ds_write2_b32 v36, v25, v47 offset1:4
	ds_write_b32 v36, v7 offset:32
	;; [unrolled: 2-line block ×4, first 2 shown]
	s_and_saveexec_b32 s1, s0
	s_cbranch_execz .LBB0_23
; %bb.22:
	v_mul_u32_u24_e32 v5, 12, v33
	v_or_b32_e32 v5, v5, v28
	v_lshl_add_u32 v5, v5, 2, 0
	ds_write2_b32 v5, v31, v4 offset1:4
	ds_write_b32 v5, v30 offset:32
.LBB0_23:
	s_or_b32 exec_lo, exec_lo, s1
	v_add_nc_u32_e32 v7, 0x800, v41
	v_add_nc_u32_e32 v8, 0x1200, v41
	;; [unrolled: 1-line block ×5, first 2 shown]
	s_waitcnt lgkmcnt(0)
	s_barrier
	buffer_gl0_inv
	ds_read2_b32 v[5:6], v41 offset1:126
	ds_read2_b32 v[28:29], v7 offset0:76 offset1:202
	ds_read2_b32 v[26:27], v8 offset0:24 offset1:150
	;; [unrolled: 1-line block ×5, first 2 shown]
	s_and_saveexec_b32 s1, s0
	s_cbranch_execz .LBB0_25
; %bb.24:
	ds_read_b32 v31, v41 offset:2016
	ds_read_b32 v4, v41 offset:4368
	;; [unrolled: 1-line block ×3, first 2 shown]
.LBB0_25:
	s_or_b32 exec_lo, exec_lo, s1
	v_and_b32_e32 v34, 0xff, v40
	v_and_b32_e32 v33, 0xff, v42
	v_mov_b32_e32 v36, 0xaaab
	v_mov_b32_e32 v47, 4
	;; [unrolled: 1-line block ×3, first 2 shown]
	v_mul_lo_u16 v35, 0xab, v34
	v_mul_lo_u16 v37, 0xab, v33
	v_mul_u32_u24_sdwa v48, v45, v36 dst_sel:DWORD dst_unused:UNUSED_PAD src0_sel:WORD_0 src1_sel:DWORD
	v_lshrrev_b16 v38, 11, v35
	v_mul_u32_u24_sdwa v35, v43, v36 dst_sel:DWORD dst_unused:UNUSED_PAD src0_sel:WORD_0 src1_sel:DWORD
	v_lshrrev_b16 v37, 11, v37
	v_mul_u32_u24_sdwa v36, v44, v36 dst_sel:DWORD dst_unused:UNUSED_PAD src0_sel:WORD_0 src1_sel:DWORD
	v_lshrrev_b32_e32 v48, 19, v48
	v_mul_lo_u16 v39, v38, 12
	v_lshrrev_b32_e32 v49, 19, v35
	v_mul_lo_u16 v35, v37, 12
	v_lshrrev_b32_e32 v36, 19, v36
	v_mul_lo_u16 v52, v48, 12
	v_sub_nc_u16 v39, v40, v39
	v_mul_lo_u16 v50, v49, 12
	v_sub_nc_u16 v51, v42, v35
	v_sub_nc_u16 v45, v45, v52
	v_lshlrev_b32_sdwa v35, v47, v39 dst_sel:DWORD dst_unused:UNUSED_PAD src0_sel:DWORD src1_sel:BYTE_0
	v_sub_nc_u16 v43, v43, v50
	v_lshlrev_b32_sdwa v50, v47, v51 dst_sel:DWORD dst_unused:UNUSED_PAD src0_sel:DWORD src1_sel:BYTE_0
	v_lshlrev_b32_sdwa v39, v53, v39 dst_sel:DWORD dst_unused:UNUSED_PAD src0_sel:DWORD src1_sel:BYTE_0
	global_load_dwordx4 v[56:59], v35, s[12:13] offset:80
	v_lshlrev_b32_sdwa v52, v47, v43 dst_sel:DWORD dst_unused:UNUSED_PAD src0_sel:DWORD src1_sel:WORD_0
	global_load_dwordx4 v[60:63], v50, s[12:13] offset:80
	v_mul_lo_u16 v35, v36, 12
	v_mul_lo_u16 v36, v36, 36
	global_load_dwordx4 v[64:67], v52, s[12:13] offset:80
	v_sub_nc_u16 v35, v44, v35
	v_lshlrev_b32_sdwa v44, v47, v45 dst_sel:DWORD dst_unused:UNUSED_PAD src0_sel:DWORD src1_sel:WORD_0
	v_lshlrev_b32_sdwa v45, v53, v45 dst_sel:DWORD dst_unused:UNUSED_PAD src0_sel:DWORD src1_sel:WORD_0
	;; [unrolled: 1-line block ×3, first 2 shown]
	s_clause 0x1
	global_load_dwordx4 v[68:71], v44, s[12:13] offset:80
	global_load_dwordx4 v[72:75], v47, s[12:13] offset:80
	v_mov_b32_e32 v44, 0x90
	v_mul_u32_u24_e32 v47, 0x90, v48
	v_lshlrev_b32_sdwa v48, v53, v51 dst_sel:DWORD dst_unused:UNUSED_PAD src0_sel:DWORD src1_sel:BYTE_0
	s_waitcnt vmcnt(0) lgkmcnt(0)
	s_barrier
	v_mul_u32_u24_sdwa v38, v38, v44 dst_sel:DWORD dst_unused:UNUSED_PAD src0_sel:WORD_0 src1_sel:DWORD
	v_mul_u32_u24_sdwa v37, v37, v44 dst_sel:DWORD dst_unused:UNUSED_PAD src0_sel:WORD_0 src1_sel:DWORD
	v_mul_u32_u24_e32 v44, 0x90, v49
	v_lshlrev_b32_sdwa v49, v53, v43 dst_sel:DWORD dst_unused:UNUSED_PAD src0_sel:DWORD src1_sel:WORD_0
	buffer_gl0_inv
	v_add3_u32 v43, 0, v38, v39
	v_add3_u32 v39, 0, v37, v48
	;; [unrolled: 1-line block ×4, first 2 shown]
	v_mul_f32_e32 v54, v28, v57
	v_mul_f32_e32 v55, v26, v59
	;; [unrolled: 1-line block ×8, first 2 shown]
	v_fmac_f32_e32 v54, v15, v56
	v_fmac_f32_e32 v55, v13, v58
	v_mul_f32_e32 v61, v16, v61
	v_mul_f32_e32 v63, v14, v63
	;; [unrolled: 1-line block ×3, first 2 shown]
	v_fmac_f32_e32 v51, v16, v60
	v_fmac_f32_e32 v52, v14, v62
	v_mul_f32_e32 v65, v11, v65
	v_mul_f32_e32 v47, v25, v69
	;; [unrolled: 1-line block ×5, first 2 shown]
	v_fmac_f32_e32 v49, v11, v64
	v_fmac_f32_e32 v50, v9, v66
	v_mul_f32_e32 v69, v12, v69
	v_mul_f32_e32 v71, v10, v71
	;; [unrolled: 1-line block ×4, first 2 shown]
	v_fma_f32 v28, v28, v56, -v57
	v_fma_f32 v15, v26, v58, -v59
	v_fmac_f32_e32 v47, v12, v68
	v_fmac_f32_e32 v48, v10, v70
	v_add_f32_e32 v10, v54, v55
	v_fma_f32 v16, v29, v60, -v61
	v_fma_f32 v13, v27, v62, -v63
	;; [unrolled: 1-line block ×3, first 2 shown]
	v_add_f32_e32 v17, v51, v52
	v_fma_f32 v11, v24, v64, -v65
	v_fma_f32 v24, v30, v74, -v75
	v_add_f32_e32 v30, v49, v50
	v_fma_f32 v9, v25, v68, -v69
	v_fma_f32 v27, v18, v70, -v71
	;; [unrolled: 1-line block ×3, first 2 shown]
	v_add_f32_e32 v4, v0, v54
	v_sub_f32_e32 v12, v28, v15
	v_add_f32_e32 v14, v1, v51
	v_add_f32_e32 v29, v2, v49
	;; [unrolled: 1-line block ×3, first 2 shown]
	v_fma_f32 v0, -0.5, v10, v0
	v_sub_f32_e32 v18, v16, v13
	v_fmac_f32_e32 v1, -0.5, v17
	v_fmac_f32_e32 v44, v32, v72
	v_sub_f32_e32 v32, v11, v26
	v_fma_f32 v2, -0.5, v30, v2
	v_fmac_f32_e32 v45, v46, v74
	v_add_f32_e32 v46, v3, v47
	v_sub_f32_e32 v57, v9, v27
	v_add_f32_e32 v4, v4, v55
	v_add_f32_e32 v10, v14, v52
	;; [unrolled: 1-line block ×3, first 2 shown]
	v_fmac_f32_e32 v3, -0.5, v56
	v_fmamk_f32 v29, v12, 0xbf5db3d7, v0
	v_fmac_f32_e32 v0, 0x3f5db3d7, v12
	v_fmamk_f32 v12, v18, 0xbf5db3d7, v1
	v_fmac_f32_e32 v1, 0x3f5db3d7, v18
	v_fmamk_f32 v18, v32, 0xbf5db3d7, v2
	v_add_f32_e32 v17, v46, v48
	v_fmac_f32_e32 v2, 0x3f5db3d7, v32
	v_fmamk_f32 v30, v57, 0xbf5db3d7, v3
	v_fmac_f32_e32 v3, 0x3f5db3d7, v57
	ds_write2_b32 v43, v4, v29 offset1:12
	ds_write_b32 v43, v0 offset:96
	ds_write2_b32 v39, v10, v12 offset1:12
	ds_write_b32 v39, v1 offset:96
	;; [unrolled: 2-line block ×4, first 2 shown]
	s_and_saveexec_b32 s1, s0
	s_cbranch_execz .LBB0_27
; %bb.26:
	v_add_f32_e32 v0, v44, v45
	v_sub_f32_e32 v1, v25, v24
	v_add_f32_e32 v2, v19, v44
	v_lshlrev_b32_sdwa v3, v53, v35 dst_sel:DWORD dst_unused:UNUSED_PAD src0_sel:DWORD src1_sel:WORD_0
	v_lshlrev_b32_sdwa v4, v53, v36 dst_sel:DWORD dst_unused:UNUSED_PAD src0_sel:DWORD src1_sel:WORD_0
	v_fma_f32 v0, -0.5, v0, v19
	v_add_f32_e32 v2, v2, v45
	v_add3_u32 v3, 0, v3, v4
	v_fmamk_f32 v4, v1, 0x3f5db3d7, v0
	v_fmac_f32_e32 v0, 0xbf5db3d7, v1
	ds_write2_b32 v3, v2, v0 offset1:12
	ds_write_b32 v3, v4 offset:96
.LBB0_27:
	s_or_b32 exec_lo, exec_lo, s1
	v_add_f32_e32 v1, v5, v28
	v_add_f32_e32 v0, v28, v15
	;; [unrolled: 1-line block ×3, first 2 shown]
	v_sub_f32_e32 v2, v54, v55
	v_sub_f32_e32 v4, v51, v52
	v_add_f32_e32 v29, v1, v15
	v_add_f32_e32 v1, v11, v26
	v_fma_f32 v28, -0.5, v0, v5
	v_add_f32_e32 v0, v6, v16
	v_fmac_f32_e32 v6, -0.5, v3
	v_add_nc_u32_e32 v17, 0x600, v41
	v_add_f32_e32 v53, v7, v11
	v_fma_f32 v54, -0.5, v1, v7
	v_add_nc_u32_e32 v7, 0x200, v41
	v_add_nc_u32_e32 v18, 0xa00, v41
	v_add_nc_u32_e32 v19, 0xe00, v41
	v_add_nc_u32_e32 v30, 0x1200, v41
	v_add_nc_u32_e32 v32, 0x1600, v41
	v_fmamk_f32 v46, v2, 0x3f5db3d7, v28
	v_fmac_f32_e32 v28, 0xbf5db3d7, v2
	v_add_f32_e32 v51, v0, v13
	v_fmamk_f32 v52, v4, 0x3f5db3d7, v6
	v_fmac_f32_e32 v6, 0xbf5db3d7, v4
	v_sub_f32_e32 v49, v49, v50
	v_add_f32_e32 v50, v8, v9
	v_add_f32_e32 v55, v9, v27
	s_waitcnt lgkmcnt(0)
	s_barrier
	buffer_gl0_inv
	ds_read2_b32 v[0:1], v41 offset1:126
	ds_read2_b32 v[13:14], v7 offset0:124 offset1:250
	ds_read2_b32 v[15:16], v17 offset0:120 offset1:246
	;; [unrolled: 1-line block ×6, first 2 shown]
	v_fmac_f32_e32 v8, -0.5, v55
	v_sub_f32_e32 v47, v47, v48
	v_add_f32_e32 v26, v53, v26
	v_fmamk_f32 v48, v49, 0x3f5db3d7, v54
	v_fmac_f32_e32 v54, 0xbf5db3d7, v49
	v_add_f32_e32 v27, v50, v27
	v_fmamk_f32 v49, v47, 0x3f5db3d7, v8
	v_fmac_f32_e32 v8, 0xbf5db3d7, v47
	s_waitcnt lgkmcnt(0)
	s_barrier
	buffer_gl0_inv
	ds_write2_b32 v43, v29, v46 offset1:12
	ds_write_b32 v43, v28 offset:96
	ds_write2_b32 v39, v51, v52 offset1:12
	ds_write_b32 v39, v6 offset:96
	;; [unrolled: 2-line block ×4, first 2 shown]
	s_and_saveexec_b32 s1, s0
	s_cbranch_execz .LBB0_29
; %bb.28:
	v_add_f32_e32 v6, v25, v24
	v_mov_b32_e32 v8, 2
	v_add_f32_e32 v25, v31, v25
	v_sub_f32_e32 v26, v44, v45
	v_fmac_f32_e32 v31, -0.5, v6
	v_lshlrev_b32_sdwa v6, v8, v35 dst_sel:DWORD dst_unused:UNUSED_PAD src0_sel:DWORD src1_sel:WORD_0
	v_lshlrev_b32_sdwa v8, v8, v36 dst_sel:DWORD dst_unused:UNUSED_PAD src0_sel:DWORD src1_sel:WORD_0
	v_add_f32_e32 v24, v25, v24
	v_fmamk_f32 v25, v26, 0x3f5db3d7, v31
	v_add3_u32 v6, 0, v6, v8
	v_fmamk_f32 v8, v26, 0xbf5db3d7, v31
	ds_write2_b32 v6, v24, v25 offset1:12
	ds_write_b32 v6, v8 offset:96
.LBB0_29:
	s_or_b32 exec_lo, exec_lo, s1
	v_mul_lo_u16 v6, v34, 57
	v_mul_lo_u16 v24, v33, 57
	v_mov_b32_e32 v28, 6
	s_waitcnt lgkmcnt(0)
	s_barrier
	v_lshrrev_b16 v6, 11, v6
	v_lshrrev_b16 v31, 11, v24
	buffer_gl0_inv
	v_mov_b32_e32 v67, 0x3f0
	v_mov_b32_e32 v68, 2
	v_mul_lo_u16 v8, v6, 36
	v_mul_lo_u16 v25, v31, 36
	v_mul_u32_u24_sdwa v6, v6, v67 dst_sel:DWORD dst_unused:UNUSED_PAD src0_sel:WORD_0 src1_sel:DWORD
	v_mul_u32_u24_sdwa v31, v31, v67 dst_sel:DWORD dst_unused:UNUSED_PAD src0_sel:WORD_0 src1_sel:DWORD
	v_sub_nc_u16 v8, v40, v8
	v_sub_nc_u16 v39, v42, v25
	v_mul_u32_u24_sdwa v24, v8, v28 dst_sel:DWORD dst_unused:UNUSED_PAD src0_sel:BYTE_0 src1_sel:DWORD
	v_mul_u32_u24_sdwa v28, v39, v28 dst_sel:DWORD dst_unused:UNUSED_PAD src0_sel:BYTE_0 src1_sel:DWORD
	v_lshlrev_b32_sdwa v8, v68, v8 dst_sel:DWORD dst_unused:UNUSED_PAD src0_sel:DWORD src1_sel:BYTE_0
	v_lshlrev_b32_sdwa v39, v68, v39 dst_sel:DWORD dst_unused:UNUSED_PAD src0_sel:DWORD src1_sel:BYTE_0
	v_lshlrev_b32_e32 v29, 3, v24
	v_lshlrev_b32_e32 v28, 3, v28
	v_add3_u32 v8, 0, v6, v8
	v_add3_u32 v6, 0, v31, v39
	s_clause 0x5
	global_load_dwordx4 v[24:27], v29, s[12:13] offset:272
	global_load_dwordx4 v[33:36], v29, s[12:13] offset:288
	;; [unrolled: 1-line block ×6, first 2 shown]
	ds_read2_b32 v[28:29], v7 offset0:124 offset1:250
	ds_read2_b32 v[37:38], v17 offset0:120 offset1:246
	;; [unrolled: 1-line block ×6, first 2 shown]
	ds_read2_b32 v[67:68], v41 offset1:126
	s_waitcnt vmcnt(0) lgkmcnt(0)
	s_barrier
	buffer_gl0_inv
	v_mul_f32_e32 v71, v63, v44
	v_mul_f32_e32 v31, v28, v25
	;; [unrolled: 1-line block ×13, first 2 shown]
	v_fmac_f32_e32 v31, v13, v24
	v_fma_f32 v13, v28, v24, -v25
	v_fmac_f32_e32 v39, v15, v26
	v_fma_f32 v15, v37, v26, -v27
	v_mul_f32_e32 v24, v14, v48
	v_mul_f32_e32 v25, v38, v50
	v_fmac_f32_e32 v70, v9, v35
	v_fma_f32 v9, v61, v35, -v36
	v_mul_f32_e32 v35, v64, v56
	v_fmac_f32_e32 v71, v4, v43
	v_fma_f32 v4, v63, v43, -v44
	v_mul_f32_e32 v37, v66, v58
	v_mul_f32_e32 v43, v3, v58
	;; [unrolled: 1-line block ×4, first 2 shown]
	v_fmac_f32_e32 v69, v11, v33
	v_fma_f32 v11, v59, v33, -v34
	v_mul_f32_e32 v28, v12, v52
	v_mul_f32_e32 v33, v62, v54
	;; [unrolled: 1-line block ×3, first 2 shown]
	v_fmac_f32_e32 v72, v2, v45
	v_fma_f32 v2, v65, v45, -v46
	v_mul_f32_e32 v36, v5, v56
	v_fmac_f32_e32 v73, v14, v47
	v_fma_f32 v14, v29, v47, -v24
	v_fmac_f32_e32 v25, v16, v49
	v_fmac_f32_e32 v35, v5, v55
	;; [unrolled: 1-line block ×3, first 2 shown]
	v_fma_f32 v3, v66, v57, -v43
	v_fma_f32 v16, v38, v49, -v26
	v_fmac_f32_e32 v27, v12, v51
	v_fma_f32 v12, v60, v51, -v28
	v_fmac_f32_e32 v33, v10, v53
	v_fma_f32 v10, v62, v53, -v34
	v_fma_f32 v5, v64, v55, -v36
	v_add_f32_e32 v24, v31, v72
	v_add_f32_e32 v26, v13, v2
	v_sub_f32_e32 v2, v13, v2
	v_add_f32_e32 v13, v39, v71
	v_add_f32_e32 v29, v15, v4
	v_sub_f32_e32 v4, v15, v4
	v_add_f32_e32 v34, v11, v9
	v_sub_f32_e32 v9, v9, v11
	v_add_f32_e32 v11, v73, v37
	v_add_f32_e32 v38, v14, v3
	v_sub_f32_e32 v3, v14, v3
	v_add_f32_e32 v14, v25, v35
	v_sub_f32_e32 v28, v31, v72
	v_sub_f32_e32 v31, v39, v71
	v_add_f32_e32 v15, v69, v70
	v_sub_f32_e32 v36, v70, v69
	v_add_f32_e32 v39, v16, v5
	v_sub_f32_e32 v25, v25, v35
	v_sub_f32_e32 v5, v16, v5
	v_add_f32_e32 v16, v27, v33
	v_add_f32_e32 v35, v12, v10
	v_sub_f32_e32 v10, v10, v12
	v_add_f32_e32 v12, v13, v24
	v_sub_f32_e32 v27, v33, v27
	;; [unrolled: 2-line block ×3, first 2 shown]
	v_sub_f32_e32 v26, v26, v34
	v_sub_f32_e32 v29, v34, v29
	v_add_f32_e32 v46, v9, v4
	v_sub_f32_e32 v48, v9, v4
	v_sub_f32_e32 v4, v4, v2
	v_add_f32_e32 v49, v14, v11
	v_sub_f32_e32 v43, v13, v24
	v_sub_f32_e32 v24, v24, v15
	;; [unrolled: 1-line block ×3, first 2 shown]
	v_add_f32_e32 v45, v36, v31
	v_sub_f32_e32 v47, v36, v31
	v_add_f32_e32 v50, v39, v38
	v_sub_f32_e32 v51, v14, v11
	v_sub_f32_e32 v14, v16, v14
	v_add_f32_e32 v54, v10, v5
	v_sub_f32_e32 v56, v10, v5
	;; [unrolled: 3-line block ×3, first 2 shown]
	v_sub_f32_e32 v9, v2, v9
	v_sub_f32_e32 v31, v31, v28
	;; [unrolled: 1-line block ×3, first 2 shown]
	v_add_f32_e32 v15, v34, v33
	v_add_f32_e32 v2, v46, v2
	v_mul_f32_e32 v26, 0x3f4a47b2, v26
	v_mul_f32_e32 v34, 0x3d64c772, v29
	;; [unrolled: 1-line block ×4, first 2 shown]
	v_add_f32_e32 v16, v16, v49
	v_sub_f32_e32 v36, v28, v36
	v_sub_f32_e32 v52, v39, v38
	;; [unrolled: 1-line block ×5, first 2 shown]
	v_add_f32_e32 v28, v45, v28
	v_mul_f32_e32 v24, 0x3f4a47b2, v24
	v_mul_f32_e32 v33, 0x3d64c772, v13
	v_mul_f32_e32 v45, 0x3f08b237, v47
	v_add_f32_e32 v35, v35, v50
	v_add_f32_e32 v3, v54, v3
	v_mul_f32_e32 v49, 0x3d64c772, v14
	v_mul_f32_e32 v54, 0x3f08b237, v56
	;; [unrolled: 1-line block ×3, first 2 shown]
	v_add_f32_e32 v0, v0, v12
	v_add_f32_e32 v53, v27, v25
	v_sub_f32_e32 v55, v27, v25
	v_sub_f32_e32 v25, v25, v37
	v_mul_f32_e32 v47, 0xbf5ff5aa, v31
	v_mul_f32_e32 v11, 0x3f4a47b2, v11
	v_add_f32_e32 v57, v67, v15
	v_fmamk_f32 v29, v29, 0x3d64c772, v26
	v_fma_f32 v34, 0x3f3bfb3b, v44, -v34
	v_fma_f32 v26, 0xbf3bfb3b, v44, -v26
	v_fmamk_f32 v44, v9, 0xbeae86e6, v46
	v_fma_f32 v4, 0xbf5ff5aa, v4, -v46
	v_fma_f32 v9, 0x3eae86e6, v9, -v48
	v_add_f32_e32 v1, v1, v16
	v_mul_f32_e32 v38, 0x3f4a47b2, v38
	v_mul_f32_e32 v50, 0x3d64c772, v39
	v_fmamk_f32 v13, v13, 0x3d64c772, v24
	v_fma_f32 v33, 0x3f3bfb3b, v43, -v33
	v_fma_f32 v24, 0xbf3bfb3b, v43, -v24
	v_fmamk_f32 v43, v36, 0xbeae86e6, v45
	v_fma_f32 v31, 0xbf5ff5aa, v31, -v45
	v_add_f32_e32 v45, v68, v35
	v_fma_f32 v46, 0x3f3bfb3b, v51, -v49
	v_fmamk_f32 v49, v10, 0xbeae86e6, v54
	v_fma_f32 v5, 0xbf5ff5aa, v5, -v54
	v_fma_f32 v10, 0x3eae86e6, v10, -v56
	v_fmamk_f32 v12, v12, 0xbf955555, v0
	v_sub_f32_e32 v27, v37, v27
	v_add_f32_e32 v37, v53, v37
	v_mul_f32_e32 v53, 0x3f08b237, v55
	v_mul_f32_e32 v55, 0xbf5ff5aa, v25
	v_fma_f32 v36, 0x3eae86e6, v36, -v47
	v_fmamk_f32 v14, v14, 0x3d64c772, v11
	v_fma_f32 v11, 0xbf3bfb3b, v51, -v11
	v_fmamk_f32 v15, v15, 0xbf955555, v57
	v_fmac_f32_e32 v44, 0xbee1c552, v2
	v_fmac_f32_e32 v4, 0xbee1c552, v2
	;; [unrolled: 1-line block ×3, first 2 shown]
	v_fmamk_f32 v2, v16, 0xbf955555, v1
	v_fmamk_f32 v39, v39, 0x3d64c772, v38
	v_fma_f32 v47, 0x3f3bfb3b, v52, -v50
	v_fma_f32 v38, 0xbf3bfb3b, v52, -v38
	v_fmamk_f32 v16, v35, 0xbf955555, v45
	v_fmac_f32_e32 v49, 0xbee1c552, v3
	v_fmac_f32_e32 v5, 0xbee1c552, v3
	;; [unrolled: 1-line block ×3, first 2 shown]
	v_add_f32_e32 v3, v13, v12
	v_fma_f32 v50, 0xbf5ff5aa, v25, -v53
	v_add_f32_e32 v25, v33, v12
	v_add_f32_e32 v12, v24, v12
	v_fmamk_f32 v48, v27, 0xbeae86e6, v53
	v_fma_f32 v51, 0x3eae86e6, v27, -v55
	v_fmac_f32_e32 v31, 0xbee1c552, v28
	v_fmac_f32_e32 v36, 0xbee1c552, v28
	v_add_f32_e32 v13, v29, v15
	v_add_f32_e32 v27, v34, v15
	;; [unrolled: 1-line block ×10, first 2 shown]
	v_fmac_f32_e32 v43, 0xbee1c552, v28
	v_add_f32_e32 v26, v9, v12
	v_sub_f32_e32 v28, v25, v4
	v_add_f32_e32 v4, v4, v25
	v_sub_f32_e32 v9, v12, v9
	v_sub_f32_e32 v3, v3, v44
	;; [unrolled: 1-line block ×3, first 2 shown]
	v_add_f32_e32 v52, v31, v27
	v_sub_f32_e32 v53, v27, v31
	v_add_f32_e32 v12, v36, v15
	v_add_f32_e32 v15, v49, v14
	;; [unrolled: 1-line block ×3, first 2 shown]
	v_sub_f32_e32 v27, v24, v5
	v_fmac_f32_e32 v48, 0xbee1c552, v37
	v_fmac_f32_e32 v50, 0xbee1c552, v37
	;; [unrolled: 1-line block ×3, first 2 shown]
	v_add_f32_e32 v5, v5, v24
	v_sub_f32_e32 v2, v2, v10
	v_sub_f32_e32 v10, v14, v49
	ds_write2_b32 v8, v0, v16 offset1:36
	ds_write2_b32 v8, v26, v28 offset0:72 offset1:108
	ds_write2_b32 v8, v4, v9 offset0:144 offset1:180
	ds_write_b32 v8, v3 offset:864
	ds_write2_b32 v6, v1, v15 offset1:36
	ds_write2_b32 v6, v25, v27 offset0:72 offset1:108
	ds_write2_b32 v6, v5, v2 offset0:144 offset1:180
	ds_write_b32 v6, v10 offset:864
	s_waitcnt lgkmcnt(0)
	s_barrier
	buffer_gl0_inv
	ds_read2_b32 v[24:25], v41 offset1:126
	ds_read2_b32 v[28:29], v7 offset0:124 offset1:250
	ds_read2_b32 v[26:27], v17 offset0:120 offset1:246
	;; [unrolled: 1-line block ×6, first 2 shown]
	v_sub_f32_e32 v38, v13, v43
	v_add_f32_e32 v13, v43, v13
	v_sub_f32_e32 v43, v39, v48
	v_sub_f32_e32 v0, v11, v51
	v_add_f32_e32 v1, v50, v46
	v_sub_f32_e32 v2, v46, v50
	v_add_f32_e32 v3, v51, v11
	v_add_f32_e32 v4, v48, v39
	s_waitcnt lgkmcnt(0)
	s_barrier
	buffer_gl0_inv
	ds_write2_b32 v8, v57, v38 offset1:36
	ds_write2_b32 v8, v47, v52 offset0:72 offset1:108
	ds_write2_b32 v8, v53, v12 offset0:144 offset1:180
	ds_write_b32 v8, v13 offset:864
	ds_write2_b32 v6, v45, v43 offset1:36
	ds_write2_b32 v6, v0, v1 offset0:72 offset1:108
	ds_write2_b32 v6, v2, v3 offset0:144 offset1:180
	ds_write_b32 v6, v4 offset:864
	s_waitcnt lgkmcnt(0)
	s_barrier
	buffer_gl0_inv
	s_and_saveexec_b32 s0, vcc_lo
	s_cbranch_execz .LBB0_31
; %bb.30:
	v_mul_u32_u24_e32 v0, 6, v42
	v_mul_u32_u24_e32 v5, 6, v40
	v_lshrrev_b32_e32 v39, 2, v40
	v_mul_lo_u32 v50, s3, v22
	v_mul_lo_u32 v51, s2, v23
	v_lshlrev_b32_e32 v4, 3, v0
	v_lshlrev_b32_e32 v38, 3, v5
	v_mul_hi_u32 v47, 0x20820821, v39
	v_mad_u64_u32 v[22:23], null, s2, v22, 0
	s_clause 0x5
	global_load_dwordx4 v[0:3], v4, s[12:13] offset:2016
	global_load_dwordx4 v[16:19], v38, s[12:13] offset:2016
	;; [unrolled: 1-line block ×6, first 2 shown]
	v_add_nc_u32_e32 v38, 0x7e, v40
	v_add_nc_u32_e32 v48, 0xe00, v41
	;; [unrolled: 1-line block ×3, first 2 shown]
	v_lshrrev_b32_e32 v55, 3, v47
	v_add3_u32 v23, v23, v51, v50
	v_lshrrev_b32_e32 v46, 2, v38
	v_add_nc_u32_e32 v56, 0x200, v41
	v_add_nc_u32_e32 v53, 0x1600, v41
	;; [unrolled: 1-line block ×4, first 2 shown]
	v_mul_hi_u32 v46, 0x20820821, v46
	v_lshlrev_b64 v[22:23], 3, v[22:23]
	v_mov_b32_e32 v39, 0
	v_lshlrev_b64 v[20:21], 3, v[20:21]
	v_lshrrev_b32_e32 v60, 3, v46
	ds_read2_b32 v[46:47], v41 offset1:126
	ds_read2_b32 v[48:49], v48 offset0:112 offset1:238
	v_mul_lo_u32 v41, 0xfc, v55
	ds_read2_b32 v[50:51], v52 offset0:116 offset1:242
	ds_read2_b32 v[52:53], v53 offset0:104 offset1:230
	;; [unrolled: 1-line block ×5, first 2 shown]
	v_mul_lo_u32 v61, 0xfc, v60
	v_sub_nc_u32_e32 v40, v40, v41
	v_add_co_u32 v41, vcc_lo, s10, v22
	v_sub_nc_u32_e32 v38, v38, v61
	v_add_co_ci_u32_e32 v61, vcc_lo, s11, v23, vcc_lo
	v_lshlrev_b32_e32 v40, 3, v40
	v_add_co_u32 v72, vcc_lo, v41, v20
	v_mad_u64_u32 v[22:23], null, 0x6e4, v60, v[38:39]
	v_add_co_ci_u32_e32 v73, vcc_lo, v61, v21, vcc_lo
	v_mov_b32_e32 v23, v39
	v_add_co_u32 v20, vcc_lo, v72, v40
	v_add_co_ci_u32_e32 v21, vcc_lo, 0, v73, vcc_lo
	v_add_nc_u32_e32 v38, 0xfc, v22
	v_lshlrev_b64 v[40:41], 3, v[22:23]
	v_add_co_u32 v60, vcc_lo, 0x800, v20
	v_add_co_ci_u32_e32 v61, vcc_lo, 0, v21, vcc_lo
	v_lshlrev_b64 v[62:63], 3, v[38:39]
	v_add_nc_u32_e32 v38, 0x1f8, v22
	v_add_co_u32 v40, vcc_lo, v72, v40
	v_add_co_ci_u32_e32 v41, vcc_lo, v73, v41, vcc_lo
	v_lshlrev_b64 v[64:65], 3, v[38:39]
	v_add_nc_u32_e32 v38, 0x2f4, v22
	;; [unrolled: 4-line block ×5, first 2 shown]
	v_add_co_u32 v22, vcc_lo, v72, v68
	v_add_co_ci_u32_e32 v23, vcc_lo, v73, v69, vcc_lo
	v_lshlrev_b64 v[38:39], 3, v[38:39]
	v_add_co_u32 v68, vcc_lo, v72, v70
	v_add_co_ci_u32_e32 v69, vcc_lo, v73, v71, vcc_lo
	v_add_co_u32 v38, vcc_lo, v72, v38
	v_add_co_ci_u32_e32 v39, vcc_lo, v73, v39, vcc_lo
	;; [unrolled: 2-line block ×3, first 2 shown]
	s_waitcnt vmcnt(1)
	v_mul_f32_e32 v74, v29, v4
	v_mul_f32_e32 v73, v37, v0
	;; [unrolled: 1-line block ×6, first 2 shown]
	s_waitcnt lgkmcnt(4)
	v_fmac_f32_e32 v73, v51, v1
	v_fma_f32 v37, v51, v0, -v37
	v_mul_f32_e32 v51, v34, v18
	v_mul_f32_e32 v34, v34, v19
	v_fmac_f32_e32 v72, v49, v3
	v_fma_f32 v35, v49, v2, -v35
	v_mul_f32_e32 v49, v36, v16
	v_mul_f32_e32 v36, v36, v17
	;; [unrolled: 4-line block ×3, first 2 shown]
	v_mul_f32_e32 v33, v33, v15
	v_fmac_f32_e32 v49, v50, v17
	v_fma_f32 v36, v50, v16, -v36
	v_mul_f32_e32 v31, v31, v13
	v_mul_f32_e32 v48, v32, v10
	;; [unrolled: 1-line block ×5, first 2 shown]
	s_waitcnt lgkmcnt(3)
	v_fmac_f32_e32 v19, v53, v15
	s_waitcnt lgkmcnt(2)
	v_fmac_f32_e32 v34, v55, v13
	v_fma_f32 v13, v53, v14, -v33
	v_mul_f32_e32 v14, v29, v5
	v_mul_f32_e32 v15, v27, v7
	s_waitcnt vmcnt(0)
	v_mul_f32_e32 v27, v28, v42
	v_mul_f32_e32 v28, v28, v43
	;; [unrolled: 1-line block ×4, first 2 shown]
	v_fma_f32 v12, v55, v12, -v31
	v_fmac_f32_e32 v48, v52, v11
	v_fma_f32 v10, v52, v10, -v32
	v_fmac_f32_e32 v50, v54, v9
	v_fma_f32 v8, v54, v8, -v30
	s_waitcnt lgkmcnt(1)
	v_fmac_f32_e32 v74, v57, v5
	s_waitcnt lgkmcnt(0)
	v_fmac_f32_e32 v75, v59, v7
	v_fma_f32 v4, v57, v4, -v14
	v_fma_f32 v5, v59, v6, -v15
	v_fmac_f32_e32 v27, v56, v43
	v_fmac_f32_e32 v29, v58, v45
	v_fma_f32 v6, v56, v42, -v28
	v_fma_f32 v7, v58, v44, -v26
	v_sub_f32_e32 v9, v74, v19
	v_sub_f32_e32 v11, v72, v73
	;; [unrolled: 1-line block ×3, first 2 shown]
	v_add_f32_e32 v15, v4, v13
	v_add_f32_e32 v26, v35, v37
	;; [unrolled: 1-line block ×6, first 2 shown]
	v_sub_f32_e32 v4, v4, v13
	v_sub_f32_e32 v13, v35, v37
	;; [unrolled: 1-line block ×5, first 2 shown]
	v_add_f32_e32 v34, v6, v10
	v_add_f32_e32 v37, v7, v8
	;; [unrolled: 1-line block ×4, first 2 shown]
	v_sub_f32_e32 v32, v51, v49
	v_add_f32_e32 v35, v18, v36
	v_add_f32_e32 v42, v51, v49
	v_sub_f32_e32 v6, v6, v10
	v_sub_f32_e32 v10, v18, v36
	;; [unrolled: 1-line block ×5, first 2 shown]
	v_add_f32_e32 v11, v11, v14
	v_add_f32_e32 v36, v15, v28
	;; [unrolled: 1-line block ×5, first 2 shown]
	v_sub_f32_e32 v48, v15, v26
	v_sub_f32_e32 v49, v26, v28
	;; [unrolled: 1-line block ×7, first 2 shown]
	v_add_f32_e32 v13, v13, v5
	v_sub_f32_e32 v14, v14, v9
	v_sub_f32_e32 v19, v31, v19
	;; [unrolled: 1-line block ×10, first 2 shown]
	v_add_f32_e32 v55, v32, v33
	v_sub_f32_e32 v32, v32, v33
	v_add_f32_e32 v56, v10, v7
	v_sub_f32_e32 v33, v33, v12
	v_sub_f32_e32 v57, v6, v10
	;; [unrolled: 1-line block ×3, first 2 shown]
	v_add_f32_e32 v26, v26, v36
	v_add_f32_e32 v30, v30, v43
	;; [unrolled: 1-line block ×6, first 2 shown]
	v_mul_f32_e32 v13, 0x3d64c772, v49
	v_mul_f32_e32 v43, 0x3f4a47b2, v48
	;; [unrolled: 1-line block ×6, first 2 shown]
	v_sub_f32_e32 v58, v7, v6
	v_add_f32_e32 v12, v12, v55
	v_add_f32_e32 v42, v6, v56
	v_mul_f32_e32 v49, 0x3d64c772, v51
	v_mul_f32_e32 v51, 0x3f4a47b2, v50
	;; [unrolled: 1-line block ×7, first 2 shown]
	v_add_f32_e32 v5, v47, v26
	v_add_f32_e32 v4, v25, v30
	;; [unrolled: 1-line block ×4, first 2 shown]
	v_fmamk_f32 v24, v48, 0x3f4a47b2, v13
	v_fma_f32 v25, 0xbf3bfb3b, v15, -v43
	v_fma_f32 v13, 0x3f3bfb3b, v15, -v13
	;; [unrolled: 1-line block ×3, first 2 shown]
	v_fmamk_f32 v43, v8, 0xbeae86e6, v18
	v_fma_f32 v8, 0xbf5ff5aa, v14, -v18
	v_fma_f32 v14, 0x3eae86e6, v52, -v45
	v_fmamk_f32 v18, v52, 0xbeae86e6, v28
	v_fma_f32 v28, 0xbf5ff5aa, v31, -v28
	v_mul_f32_e32 v56, 0x3f4a47b2, v53
	v_mul_f32_e32 v72, 0xbf5ff5aa, v58
	;; [unrolled: 1-line block ×3, first 2 shown]
	v_fmamk_f32 v31, v50, 0x3f4a47b2, v49
	v_fma_f32 v44, 0xbf3bfb3b, v19, -v51
	v_fma_f32 v19, 0x3f3bfb3b, v19, -v49
	v_fmamk_f32 v45, v53, 0x3f4a47b2, v55
	v_fma_f32 v47, 0x3eae86e6, v29, -v59
	v_fmamk_f32 v29, v29, 0xbeae86e6, v32
	;; [unrolled: 2-line block ×4, first 2 shown]
	v_fmac_f32_e32 v43, 0xbee1c552, v9
	v_fmac_f32_e32 v15, 0xbee1c552, v9
	;; [unrolled: 1-line block ×6, first 2 shown]
	v_fmamk_f32 v9, v35, 0xbf955555, v7
	v_fmamk_f32 v11, v36, 0xbf955555, v6
	global_store_dwordx2 v[20:21], v[6:7], off
	v_fmamk_f32 v6, v26, 0xbf955555, v5
	v_fmamk_f32 v7, v30, 0xbf955555, v4
	v_fma_f32 v46, 0xbf3bfb3b, v34, -v56
	v_fma_f32 v34, 0x3f3bfb3b, v34, -v55
	;; [unrolled: 1-line block ×5, first 2 shown]
	v_fmac_f32_e32 v29, 0xbee1c552, v12
	v_fmac_f32_e32 v47, 0xbee1c552, v12
	;; [unrolled: 1-line block ×4, first 2 shown]
	v_add_f32_e32 v12, v25, v6
	v_add_f32_e32 v13, v13, v6
	;; [unrolled: 1-line block ×6, first 2 shown]
	v_fmac_f32_e32 v48, 0xbee1c552, v42
	v_add_f32_e32 v24, v24, v6
	v_add_f32_e32 v19, v19, v7
	v_add_f32_e32 v35, v46, v9
	v_add_f32_e32 v36, v37, v11
	v_add_f32_e32 v34, v34, v9
	v_add_co_u32 v0, vcc_lo, 0x1800, v20
	v_fmac_f32_e32 v49, 0xbee1c552, v42
	v_add_f32_e32 v37, v27, v11
	v_add_co_ci_u32_e32 v1, vcc_lo, 0, v21, vcc_lo
	v_add_co_u32 v2, vcc_lo, 0x2000, v20
	v_sub_f32_e32 v7, v13, v8
	v_add_f32_e32 v9, v8, v13
	v_add_f32_e32 v11, v15, v12
	v_sub_f32_e32 v10, v26, v14
	v_sub_f32_e32 v13, v12, v15
	v_add_f32_e32 v12, v14, v26
	v_sub_f32_e32 v27, v30, v29
	v_add_f32_e32 v26, v33, v31
	v_add_f32_e32 v6, v28, v19
	v_sub_f32_e32 v8, v19, v28
	v_add_f32_e32 v15, v43, v24
	v_sub_f32_e32 v14, v25, v18
	v_sub_f32_e32 v19, v24, v43
	v_add_f32_e32 v18, v18, v25
	v_add_f32_e32 v25, v29, v30
	v_sub_f32_e32 v24, v31, v33
	v_sub_f32_e32 v29, v34, v32
	v_add_f32_e32 v31, v32, v34
	v_sub_f32_e32 v33, v35, v47
	v_add_f32_e32 v32, v48, v36
	v_add_co_ci_u32_e32 v3, vcc_lo, 0, v21, vcc_lo
	v_sub_f32_e32 v30, v37, v49
	v_add_co_u32 v16, vcc_lo, 0x2800, v20
	v_add_f32_e32 v28, v49, v37
	v_add_f32_e32 v35, v47, v35
	v_sub_f32_e32 v34, v36, v48
	v_add_co_ci_u32_e32 v17, vcc_lo, 0, v21, vcc_lo
	global_store_dwordx2 v[20:21], v[26:27], off offset:2016
	global_store_dwordx2 v[60:61], v[32:33], off offset:1984
	;; [unrolled: 1-line block ×6, first 2 shown]
	global_store_dwordx2 v[40:41], v[4:5], off
	global_store_dwordx2 v[62:63], v[18:19], off
	;; [unrolled: 1-line block ×7, first 2 shown]
.LBB0_31:
	s_endpgm
	.section	.rodata,"a",@progbits
	.p2align	6, 0x0
	.amdhsa_kernel fft_rtc_back_len1764_factors_2_2_3_3_7_7_wgs_126_tpt_126_halfLds_sp_op_CI_CI_unitstride_sbrr_dirReg
		.amdhsa_group_segment_fixed_size 0
		.amdhsa_private_segment_fixed_size 0
		.amdhsa_kernarg_size 104
		.amdhsa_user_sgpr_count 6
		.amdhsa_user_sgpr_private_segment_buffer 1
		.amdhsa_user_sgpr_dispatch_ptr 0
		.amdhsa_user_sgpr_queue_ptr 0
		.amdhsa_user_sgpr_kernarg_segment_ptr 1
		.amdhsa_user_sgpr_dispatch_id 0
		.amdhsa_user_sgpr_flat_scratch_init 0
		.amdhsa_user_sgpr_private_segment_size 0
		.amdhsa_wavefront_size32 1
		.amdhsa_uses_dynamic_stack 0
		.amdhsa_system_sgpr_private_segment_wavefront_offset 0
		.amdhsa_system_sgpr_workgroup_id_x 1
		.amdhsa_system_sgpr_workgroup_id_y 0
		.amdhsa_system_sgpr_workgroup_id_z 0
		.amdhsa_system_sgpr_workgroup_info 0
		.amdhsa_system_vgpr_workitem_id 0
		.amdhsa_next_free_vgpr 76
		.amdhsa_next_free_sgpr 27
		.amdhsa_reserve_vcc 1
		.amdhsa_reserve_flat_scratch 0
		.amdhsa_float_round_mode_32 0
		.amdhsa_float_round_mode_16_64 0
		.amdhsa_float_denorm_mode_32 3
		.amdhsa_float_denorm_mode_16_64 3
		.amdhsa_dx10_clamp 1
		.amdhsa_ieee_mode 1
		.amdhsa_fp16_overflow 0
		.amdhsa_workgroup_processor_mode 1
		.amdhsa_memory_ordered 1
		.amdhsa_forward_progress 0
		.amdhsa_shared_vgpr_count 0
		.amdhsa_exception_fp_ieee_invalid_op 0
		.amdhsa_exception_fp_denorm_src 0
		.amdhsa_exception_fp_ieee_div_zero 0
		.amdhsa_exception_fp_ieee_overflow 0
		.amdhsa_exception_fp_ieee_underflow 0
		.amdhsa_exception_fp_ieee_inexact 0
		.amdhsa_exception_int_div_zero 0
	.end_amdhsa_kernel
	.text
.Lfunc_end0:
	.size	fft_rtc_back_len1764_factors_2_2_3_3_7_7_wgs_126_tpt_126_halfLds_sp_op_CI_CI_unitstride_sbrr_dirReg, .Lfunc_end0-fft_rtc_back_len1764_factors_2_2_3_3_7_7_wgs_126_tpt_126_halfLds_sp_op_CI_CI_unitstride_sbrr_dirReg
                                        ; -- End function
	.section	.AMDGPU.csdata,"",@progbits
; Kernel info:
; codeLenInByte = 9372
; NumSgprs: 29
; NumVgprs: 76
; ScratchSize: 0
; MemoryBound: 0
; FloatMode: 240
; IeeeMode: 1
; LDSByteSize: 0 bytes/workgroup (compile time only)
; SGPRBlocks: 3
; VGPRBlocks: 9
; NumSGPRsForWavesPerEU: 29
; NumVGPRsForWavesPerEU: 76
; Occupancy: 12
; WaveLimiterHint : 1
; COMPUTE_PGM_RSRC2:SCRATCH_EN: 0
; COMPUTE_PGM_RSRC2:USER_SGPR: 6
; COMPUTE_PGM_RSRC2:TRAP_HANDLER: 0
; COMPUTE_PGM_RSRC2:TGID_X_EN: 1
; COMPUTE_PGM_RSRC2:TGID_Y_EN: 0
; COMPUTE_PGM_RSRC2:TGID_Z_EN: 0
; COMPUTE_PGM_RSRC2:TIDIG_COMP_CNT: 0
	.text
	.p2alignl 6, 3214868480
	.fill 48, 4, 3214868480
	.type	__hip_cuid_3b9a0c028fb1c872,@object ; @__hip_cuid_3b9a0c028fb1c872
	.section	.bss,"aw",@nobits
	.globl	__hip_cuid_3b9a0c028fb1c872
__hip_cuid_3b9a0c028fb1c872:
	.byte	0                               ; 0x0
	.size	__hip_cuid_3b9a0c028fb1c872, 1

	.ident	"AMD clang version 19.0.0git (https://github.com/RadeonOpenCompute/llvm-project roc-6.4.0 25133 c7fe45cf4b819c5991fe208aaa96edf142730f1d)"
	.section	".note.GNU-stack","",@progbits
	.addrsig
	.addrsig_sym __hip_cuid_3b9a0c028fb1c872
	.amdgpu_metadata
---
amdhsa.kernels:
  - .args:
      - .actual_access:  read_only
        .address_space:  global
        .offset:         0
        .size:           8
        .value_kind:     global_buffer
      - .offset:         8
        .size:           8
        .value_kind:     by_value
      - .actual_access:  read_only
        .address_space:  global
        .offset:         16
        .size:           8
        .value_kind:     global_buffer
      - .actual_access:  read_only
        .address_space:  global
        .offset:         24
        .size:           8
        .value_kind:     global_buffer
      - .actual_access:  read_only
        .address_space:  global
        .offset:         32
        .size:           8
        .value_kind:     global_buffer
      - .offset:         40
        .size:           8
        .value_kind:     by_value
      - .actual_access:  read_only
        .address_space:  global
        .offset:         48
        .size:           8
        .value_kind:     global_buffer
      - .actual_access:  read_only
        .address_space:  global
        .offset:         56
        .size:           8
        .value_kind:     global_buffer
      - .offset:         64
        .size:           4
        .value_kind:     by_value
      - .actual_access:  read_only
        .address_space:  global
        .offset:         72
        .size:           8
        .value_kind:     global_buffer
      - .actual_access:  read_only
        .address_space:  global
        .offset:         80
        .size:           8
        .value_kind:     global_buffer
      - .actual_access:  read_only
        .address_space:  global
        .offset:         88
        .size:           8
        .value_kind:     global_buffer
      - .actual_access:  write_only
        .address_space:  global
        .offset:         96
        .size:           8
        .value_kind:     global_buffer
    .group_segment_fixed_size: 0
    .kernarg_segment_align: 8
    .kernarg_segment_size: 104
    .language:       OpenCL C
    .language_version:
      - 2
      - 0
    .max_flat_workgroup_size: 126
    .name:           fft_rtc_back_len1764_factors_2_2_3_3_7_7_wgs_126_tpt_126_halfLds_sp_op_CI_CI_unitstride_sbrr_dirReg
    .private_segment_fixed_size: 0
    .sgpr_count:     29
    .sgpr_spill_count: 0
    .symbol:         fft_rtc_back_len1764_factors_2_2_3_3_7_7_wgs_126_tpt_126_halfLds_sp_op_CI_CI_unitstride_sbrr_dirReg.kd
    .uniform_work_group_size: 1
    .uses_dynamic_stack: false
    .vgpr_count:     76
    .vgpr_spill_count: 0
    .wavefront_size: 32
    .workgroup_processor_mode: 1
amdhsa.target:   amdgcn-amd-amdhsa--gfx1030
amdhsa.version:
  - 1
  - 2
...

	.end_amdgpu_metadata
